;; amdgpu-corpus repo=ROCm/rocFFT kind=compiled arch=gfx1030 opt=O3
	.text
	.amdgcn_target "amdgcn-amd-amdhsa--gfx1030"
	.amdhsa_code_object_version 6
	.protected	fft_rtc_back_len1372_factors_2_2_7_7_7_wgs_196_tpt_98_halfLds_half_ip_CI_unitstride_sbrr_dirReg ; -- Begin function fft_rtc_back_len1372_factors_2_2_7_7_7_wgs_196_tpt_98_halfLds_half_ip_CI_unitstride_sbrr_dirReg
	.globl	fft_rtc_back_len1372_factors_2_2_7_7_7_wgs_196_tpt_98_halfLds_half_ip_CI_unitstride_sbrr_dirReg
	.p2align	8
	.type	fft_rtc_back_len1372_factors_2_2_7_7_7_wgs_196_tpt_98_halfLds_half_ip_CI_unitstride_sbrr_dirReg,@function
fft_rtc_back_len1372_factors_2_2_7_7_7_wgs_196_tpt_98_halfLds_half_ip_CI_unitstride_sbrr_dirReg: ; @fft_rtc_back_len1372_factors_2_2_7_7_7_wgs_196_tpt_98_halfLds_half_ip_CI_unitstride_sbrr_dirReg
; %bb.0:
	s_clause 0x2
	s_load_dwordx4 s[8:11], s[4:5], 0x0
	s_load_dwordx2 s[2:3], s[4:5], 0x50
	s_load_dwordx2 s[12:13], s[4:5], 0x18
	v_mul_u32_u24_e32 v1, 0x29d, v0
	v_mov_b32_e32 v3, 0
	v_lshrrev_b32_e32 v9, 16, v1
	v_mov_b32_e32 v1, 0
	v_mov_b32_e32 v6, v3
	v_mov_b32_e32 v2, 0
	v_lshl_add_u32 v5, s6, 1, v9
	s_waitcnt lgkmcnt(0)
	v_cmp_lt_u64_e64 s0, s[10:11], 2
	s_and_b32 vcc_lo, exec_lo, s0
	s_cbranch_vccnz .LBB0_8
; %bb.1:
	s_load_dwordx2 s[0:1], s[4:5], 0x10
	v_mov_b32_e32 v1, 0
	s_add_u32 s6, s12, 8
	v_mov_b32_e32 v2, 0
	s_addc_u32 s7, s13, 0
	s_mov_b64 s[16:17], 1
	s_waitcnt lgkmcnt(0)
	s_add_u32 s14, s0, 8
	s_addc_u32 s15, s1, 0
.LBB0_2:                                ; =>This Inner Loop Header: Depth=1
	s_load_dwordx2 s[18:19], s[14:15], 0x0
                                        ; implicit-def: $vgpr7_vgpr8
	s_mov_b32 s0, exec_lo
	s_waitcnt lgkmcnt(0)
	v_or_b32_e32 v4, s19, v6
	v_cmpx_ne_u64_e32 0, v[3:4]
	s_xor_b32 s1, exec_lo, s0
	s_cbranch_execz .LBB0_4
; %bb.3:                                ;   in Loop: Header=BB0_2 Depth=1
	v_cvt_f32_u32_e32 v4, s18
	v_cvt_f32_u32_e32 v7, s19
	s_sub_u32 s0, 0, s18
	s_subb_u32 s20, 0, s19
	v_fmac_f32_e32 v4, 0x4f800000, v7
	v_rcp_f32_e32 v4, v4
	v_mul_f32_e32 v4, 0x5f7ffffc, v4
	v_mul_f32_e32 v7, 0x2f800000, v4
	v_trunc_f32_e32 v7, v7
	v_fmac_f32_e32 v4, 0xcf800000, v7
	v_cvt_u32_f32_e32 v7, v7
	v_cvt_u32_f32_e32 v4, v4
	v_mul_lo_u32 v8, s0, v7
	v_mul_hi_u32 v10, s0, v4
	v_mul_lo_u32 v11, s20, v4
	v_add_nc_u32_e32 v8, v10, v8
	v_mul_lo_u32 v10, s0, v4
	v_add_nc_u32_e32 v8, v8, v11
	v_mul_hi_u32 v11, v4, v10
	v_mul_lo_u32 v12, v4, v8
	v_mul_hi_u32 v13, v4, v8
	v_mul_hi_u32 v14, v7, v10
	v_mul_lo_u32 v10, v7, v10
	v_mul_hi_u32 v15, v7, v8
	v_mul_lo_u32 v8, v7, v8
	v_add_co_u32 v11, vcc_lo, v11, v12
	v_add_co_ci_u32_e32 v12, vcc_lo, 0, v13, vcc_lo
	v_add_co_u32 v10, vcc_lo, v11, v10
	v_add_co_ci_u32_e32 v10, vcc_lo, v12, v14, vcc_lo
	v_add_co_ci_u32_e32 v11, vcc_lo, 0, v15, vcc_lo
	v_add_co_u32 v8, vcc_lo, v10, v8
	v_add_co_ci_u32_e32 v10, vcc_lo, 0, v11, vcc_lo
	v_add_co_u32 v4, vcc_lo, v4, v8
	v_add_co_ci_u32_e32 v7, vcc_lo, v7, v10, vcc_lo
	v_mul_hi_u32 v8, s0, v4
	v_mul_lo_u32 v11, s20, v4
	v_mul_lo_u32 v10, s0, v7
	v_add_nc_u32_e32 v8, v8, v10
	v_mul_lo_u32 v10, s0, v4
	v_add_nc_u32_e32 v8, v8, v11
	v_mul_hi_u32 v11, v4, v10
	v_mul_lo_u32 v12, v4, v8
	v_mul_hi_u32 v13, v4, v8
	v_mul_hi_u32 v14, v7, v10
	v_mul_lo_u32 v10, v7, v10
	v_mul_hi_u32 v15, v7, v8
	v_mul_lo_u32 v8, v7, v8
	v_add_co_u32 v11, vcc_lo, v11, v12
	v_add_co_ci_u32_e32 v12, vcc_lo, 0, v13, vcc_lo
	v_add_co_u32 v10, vcc_lo, v11, v10
	v_add_co_ci_u32_e32 v10, vcc_lo, v12, v14, vcc_lo
	v_add_co_ci_u32_e32 v11, vcc_lo, 0, v15, vcc_lo
	v_add_co_u32 v8, vcc_lo, v10, v8
	v_add_co_ci_u32_e32 v10, vcc_lo, 0, v11, vcc_lo
	v_add_co_u32 v4, vcc_lo, v4, v8
	v_add_co_ci_u32_e32 v12, vcc_lo, v7, v10, vcc_lo
	v_mul_hi_u32 v14, v5, v4
	v_mad_u64_u32 v[10:11], null, v6, v4, 0
	v_mad_u64_u32 v[7:8], null, v5, v12, 0
	;; [unrolled: 1-line block ×3, first 2 shown]
	v_add_co_u32 v4, vcc_lo, v14, v7
	v_add_co_ci_u32_e32 v7, vcc_lo, 0, v8, vcc_lo
	v_add_co_u32 v4, vcc_lo, v4, v10
	v_add_co_ci_u32_e32 v4, vcc_lo, v7, v11, vcc_lo
	v_add_co_ci_u32_e32 v7, vcc_lo, 0, v13, vcc_lo
	v_add_co_u32 v4, vcc_lo, v4, v12
	v_add_co_ci_u32_e32 v10, vcc_lo, 0, v7, vcc_lo
	v_mul_lo_u32 v11, s19, v4
	v_mad_u64_u32 v[7:8], null, s18, v4, 0
	v_mul_lo_u32 v12, s18, v10
	v_sub_co_u32 v7, vcc_lo, v5, v7
	v_add3_u32 v8, v8, v12, v11
	v_sub_nc_u32_e32 v11, v6, v8
	v_subrev_co_ci_u32_e64 v11, s0, s19, v11, vcc_lo
	v_add_co_u32 v12, s0, v4, 2
	v_add_co_ci_u32_e64 v13, s0, 0, v10, s0
	v_sub_co_u32 v14, s0, v7, s18
	v_sub_co_ci_u32_e32 v8, vcc_lo, v6, v8, vcc_lo
	v_subrev_co_ci_u32_e64 v11, s0, 0, v11, s0
	v_cmp_le_u32_e32 vcc_lo, s18, v14
	v_cmp_eq_u32_e64 s0, s19, v8
	v_cndmask_b32_e64 v14, 0, -1, vcc_lo
	v_cmp_le_u32_e32 vcc_lo, s19, v11
	v_cndmask_b32_e64 v15, 0, -1, vcc_lo
	v_cmp_le_u32_e32 vcc_lo, s18, v7
	;; [unrolled: 2-line block ×3, first 2 shown]
	v_cndmask_b32_e64 v16, 0, -1, vcc_lo
	v_cmp_eq_u32_e32 vcc_lo, s19, v11
	v_cndmask_b32_e64 v7, v16, v7, s0
	v_cndmask_b32_e32 v11, v15, v14, vcc_lo
	v_add_co_u32 v14, vcc_lo, v4, 1
	v_add_co_ci_u32_e32 v15, vcc_lo, 0, v10, vcc_lo
	v_cmp_ne_u32_e32 vcc_lo, 0, v11
	v_cndmask_b32_e32 v8, v15, v13, vcc_lo
	v_cndmask_b32_e32 v11, v14, v12, vcc_lo
	v_cmp_ne_u32_e32 vcc_lo, 0, v7
	v_cndmask_b32_e32 v8, v10, v8, vcc_lo
	v_cndmask_b32_e32 v7, v4, v11, vcc_lo
.LBB0_4:                                ;   in Loop: Header=BB0_2 Depth=1
	s_andn2_saveexec_b32 s0, s1
	s_cbranch_execz .LBB0_6
; %bb.5:                                ;   in Loop: Header=BB0_2 Depth=1
	v_cvt_f32_u32_e32 v4, s18
	s_sub_i32 s1, 0, s18
	v_rcp_iflag_f32_e32 v4, v4
	v_mul_f32_e32 v4, 0x4f7ffffe, v4
	v_cvt_u32_f32_e32 v4, v4
	v_mul_lo_u32 v7, s1, v4
	v_mul_hi_u32 v7, v4, v7
	v_add_nc_u32_e32 v4, v4, v7
	v_mul_hi_u32 v4, v5, v4
	v_mul_lo_u32 v7, v4, s18
	v_add_nc_u32_e32 v8, 1, v4
	v_sub_nc_u32_e32 v7, v5, v7
	v_subrev_nc_u32_e32 v10, s18, v7
	v_cmp_le_u32_e32 vcc_lo, s18, v7
	v_cndmask_b32_e32 v7, v7, v10, vcc_lo
	v_cndmask_b32_e32 v4, v4, v8, vcc_lo
	v_cmp_le_u32_e32 vcc_lo, s18, v7
	v_add_nc_u32_e32 v8, 1, v4
	v_cndmask_b32_e32 v7, v4, v8, vcc_lo
	v_mov_b32_e32 v8, v3
.LBB0_6:                                ;   in Loop: Header=BB0_2 Depth=1
	s_or_b32 exec_lo, exec_lo, s0
	s_load_dwordx2 s[0:1], s[6:7], 0x0
	v_mul_lo_u32 v4, v8, s18
	v_mul_lo_u32 v12, v7, s19
	v_mad_u64_u32 v[10:11], null, v7, s18, 0
	s_add_u32 s16, s16, 1
	s_addc_u32 s17, s17, 0
	s_add_u32 s6, s6, 8
	s_addc_u32 s7, s7, 0
	;; [unrolled: 2-line block ×3, first 2 shown]
	v_add3_u32 v4, v11, v12, v4
	v_sub_co_u32 v5, vcc_lo, v5, v10
	v_sub_co_ci_u32_e32 v4, vcc_lo, v6, v4, vcc_lo
	s_waitcnt lgkmcnt(0)
	v_mul_lo_u32 v6, s1, v5
	v_mul_lo_u32 v4, s0, v4
	v_mad_u64_u32 v[1:2], null, s0, v5, v[1:2]
	v_cmp_ge_u64_e64 s0, s[16:17], s[10:11]
	s_and_b32 vcc_lo, exec_lo, s0
	v_add3_u32 v2, v6, v2, v4
	s_cbranch_vccnz .LBB0_9
; %bb.7:                                ;   in Loop: Header=BB0_2 Depth=1
	v_mov_b32_e32 v5, v7
	v_mov_b32_e32 v6, v8
	s_branch .LBB0_2
.LBB0_8:
	v_mov_b32_e32 v8, v6
	v_mov_b32_e32 v7, v5
.LBB0_9:
	s_lshl_b64 s[0:1], s[10:11], 3
	v_mul_hi_u32 v3, 0x29cbc15, v0
	s_add_u32 s0, s12, s0
	s_addc_u32 s1, s13, s1
	v_mov_b32_e32 v10, 0
	s_load_dwordx2 s[0:1], s[0:1], 0x0
	s_load_dwordx2 s[4:5], s[4:5], 0x20
	v_mov_b32_e32 v16, 0
	v_mov_b32_e32 v13, 0
	;; [unrolled: 1-line block ×3, first 2 shown]
	v_mul_u32_u24_e32 v3, 0x62, v3
	v_mov_b32_e32 v6, 0
                                        ; implicit-def: $vgpr24
                                        ; implicit-def: $vgpr19
                                        ; implicit-def: $vgpr23
                                        ; implicit-def: $vgpr21
                                        ; implicit-def: $vgpr15
                                        ; implicit-def: $vgpr22
                                        ; implicit-def: $vgpr14
                                        ; implicit-def: $vgpr20
                                        ; implicit-def: $vgpr17
                                        ; implicit-def: $vgpr12
                                        ; implicit-def: $vgpr18
	v_sub_nc_u32_e32 v0, v0, v3
	s_waitcnt lgkmcnt(0)
	v_mul_lo_u32 v4, s0, v8
	v_mul_lo_u32 v5, s1, v7
	v_mad_u64_u32 v[1:2], null, s0, v7, v[1:2]
	v_cmp_gt_u64_e32 vcc_lo, s[4:5], v[7:8]
                                        ; implicit-def: $vgpr8
                                        ; implicit-def: $vgpr7
	v_add3_u32 v2, v5, v2, v4
	v_mov_b32_e32 v4, 0
	v_mov_b32_e32 v5, 0
	v_lshlrev_b64 v[2:3], 2, v[1:2]
                                        ; implicit-def: $vgpr1
	s_and_saveexec_b32 s1, vcc_lo
	s_cbranch_execz .LBB0_11
; %bb.10:
	v_mov_b32_e32 v1, 0
	v_lshlrev_b64 v[4:5], 2, v[0:1]
	v_add_co_u32 v1, s0, s2, v2
	v_add_co_ci_u32_e64 v6, s0, s3, v3, s0
	v_add_co_u32 v4, s0, v1, v4
	v_add_co_ci_u32_e64 v5, s0, v6, v5, s0
	;; [unrolled: 2-line block ×4, first 2 shown]
	s_clause 0xd
	global_load_dword v19, v[17:18], off offset:696
	global_load_dword v1, v[17:18], off offset:1088
	;; [unrolled: 1-line block ×7, first 2 shown]
	global_load_dword v10, v[4:5], off
	global_load_dword v16, v[4:5], off offset:392
	global_load_dword v13, v[4:5], off offset:784
	global_load_dword v11, v[4:5], off offset:1176
	global_load_dword v6, v[4:5], off offset:1568
	global_load_dword v4, v[4:5], off offset:1960
	global_load_dword v5, v[17:18], off offset:304
	s_waitcnt vmcnt(13)
	v_lshrrev_b32_e32 v24, 16, v19
	s_waitcnt vmcnt(12)
	v_lshrrev_b32_e32 v23, 16, v1
	;; [unrolled: 2-line block ×7, first 2 shown]
.LBB0_11:
	s_or_b32 exec_lo, exec_lo, s1
	v_and_b32_e32 v9, 1, v9
	s_waitcnt vmcnt(6)
	v_sub_f16_e32 v19, v10, v19
	s_waitcnt vmcnt(5)
	v_sub_f16_e32 v27, v16, v1
	v_lshrrev_b32_e32 v25, 16, v10
	s_waitcnt vmcnt(1)
	v_sub_f16_e32 v12, v4, v12
	v_cmp_eq_u32_e64 s0, 1, v9
	v_fma_f16 v9, v10, 2.0, -v19
	s_waitcnt vmcnt(0)
	v_sub_f16_e32 v33, v5, v7
	v_lshrrev_b32_e32 v26, 16, v16
	v_sub_f16_e32 v24, v25, v24
	v_cndmask_b32_e64 v1, 0, 0xab8, s0
	v_sub_f16_e32 v15, v13, v15
	v_sub_f16_e32 v14, v11, v14
	v_fma_f16 v16, v16, 2.0, -v27
	v_lshrrev_b32_e32 v30, 16, v4
	v_add_nc_u32_e32 v7, 0, v1
	v_fma_f16 v32, v4, 2.0, -v12
	v_add_nc_u32_e32 v4, 0x62, v0
	v_pack_b32_f16 v9, v9, v19
	v_sub_f16_e32 v10, v26, v23
	v_lshl_add_u32 v34, v0, 2, v7
	v_fma_f16 v23, v25, 2.0, -v24
	v_lshrrev_b32_e32 v25, 16, v13
	v_fma_f16 v13, v13, 2.0, -v15
	v_sub_f16_e32 v8, v6, v8
	v_lshrrev_b32_e32 v28, 16, v11
	v_fma_f16 v11, v11, 2.0, -v14
	v_lshl_add_u32 v19, v4, 2, v7
	v_pack_b32_f16 v16, v16, v27
	v_add_nc_u32_e32 v27, 0xc4, v0
	v_lshrrev_b32_e32 v29, 16, v6
	ds_write_b32 v34, v9
	v_add_nc_u32_e32 v9, 0x126, v0
	v_sub_f16_e32 v21, v25, v21
	v_fma_f16 v6, v6, 2.0, -v8
	v_pack_b32_f16 v13, v13, v15
	v_add_nc_u32_e32 v15, 0x188, v0
	v_add_nc_u32_e32 v37, 0x1ea, v0
	v_lshrrev_b32_e32 v31, 16, v5
	v_fma_f16 v5, v5, 2.0, -v33
	v_pack_b32_f16 v11, v11, v14
	v_add_nc_u32_e32 v14, 0x24c, v0
	v_sub_f16_e32 v22, v28, v22
	v_lshlrev_b32_e32 v35, 1, v0
	ds_write_b32 v19, v16
	v_lshl_add_u32 v16, v27, 2, v7
	v_fma_f16 v26, v26, 2.0, -v10
	v_sub_f16_e32 v20, v29, v20
	v_lshl_add_u32 v36, v9, 2, v7
	v_fma_f16 v25, v25, 2.0, -v21
	v_sub_f16_e32 v17, v30, v17
	v_lshl_add_u32 v38, v15, 2, v7
	v_pack_b32_f16 v6, v6, v8
	v_lshl_add_u32 v8, v37, 2, v7
	v_pack_b32_f16 v12, v32, v12
	;; [unrolled: 2-line block ×3, first 2 shown]
	v_fma_f16 v28, v28, 2.0, -v22
	v_sub_f16_e32 v18, v31, v18
	ds_write_b32 v16, v13
	ds_write_b32 v36, v11
	;; [unrolled: 1-line block ×5, first 2 shown]
	v_add_nc_u32_e32 v5, v7, v35
	v_pack_b32_f16 v23, v23, v24
	v_fma_f16 v29, v29, 2.0, -v20
	v_add3_u32 v6, 0, v35, v1
	v_pack_b32_f16 v10, v26, v10
	v_fma_f16 v30, v30, 2.0, -v17
	v_pack_b32_f16 v21, v25, v21
	v_fma_f16 v31, v31, 2.0, -v18
	s_waitcnt lgkmcnt(0)
	s_barrier
	buffer_gl0_inv
	ds_read_u16 v11, v5
	ds_read_u16 v12, v6 offset:196
	ds_read_u16 v13, v6 offset:392
	;; [unrolled: 1-line block ×13, first 2 shown]
	s_waitcnt lgkmcnt(0)
	s_barrier
	buffer_gl0_inv
	ds_write_b32 v34, v23
	ds_write_b32 v19, v10
	;; [unrolled: 1-line block ×3, first 2 shown]
	v_pack_b32_f16 v10, v28, v22
	v_and_b32_e32 v19, 1, v0
	v_pack_b32_f16 v16, v29, v20
	v_pack_b32_f16 v17, v30, v17
	;; [unrolled: 1-line block ×3, first 2 shown]
	ds_write_b32 v36, v10
	ds_write_b32 v38, v16
	;; [unrolled: 1-line block ×3, first 2 shown]
	v_lshlrev_b32_e32 v8, 2, v19
	v_and_b32_e32 v10, 3, v0
	ds_write_b32 v32, v18
	s_waitcnt lgkmcnt(0)
	s_barrier
	buffer_gl0_inv
	global_load_dword v8, v8, s[8:9]
	v_lshlrev_b32_e32 v9, 1, v9
	v_lshlrev_b32_e32 v16, 1, v4
	;; [unrolled: 1-line block ×6, first 2 shown]
	v_mul_u32_u24_e32 v21, 6, v10
	v_and_or_b32 v9, 0x3fc, v9, v19
	v_and_or_b32 v20, 0xfc, v35, v19
	;; [unrolled: 1-line block ×7, first 2 shown]
	v_lshlrev_b32_e32 v19, 2, v21
	v_lshl_add_u32 v21, v9, 1, v7
	ds_read_u16 v9, v6 offset:1372
	ds_read_u16 v22, v6 offset:1568
	;; [unrolled: 1-line block ×7, first 2 shown]
	ds_read_u16 v28, v5
	ds_read_u16 v29, v6 offset:196
	ds_read_u16 v30, v6 offset:392
	;; [unrolled: 1-line block ×6, first 2 shown]
	v_lshl_add_u32 v20, v20, 1, v7
	v_lshl_add_u32 v16, v16, 1, v7
	;; [unrolled: 1-line block ×6, first 2 shown]
	s_waitcnt vmcnt(0) lgkmcnt(0)
	s_barrier
	buffer_gl0_inv
	v_mul_f16_sdwa v36, v9, v8 dst_sel:DWORD dst_unused:UNUSED_PAD src0_sel:DWORD src1_sel:WORD_1
	v_mul_f16_sdwa v37, v41, v8 dst_sel:DWORD dst_unused:UNUSED_PAD src0_sel:DWORD src1_sel:WORD_1
	;; [unrolled: 1-line block ×14, first 2 shown]
	v_fmac_f16_e32 v36, v41, v8
	v_fma_f16 v9, v9, v8, -v37
	v_fmac_f16_e32 v38, v43, v8
	v_fma_f16 v22, v22, v8, -v49
	;; [unrolled: 2-line block ×3, first 2 shown]
	v_fmac_f16_e32 v52, v45, v8
	v_fmac_f16_e32 v54, v46, v8
	;; [unrolled: 1-line block ×4, first 2 shown]
	v_fma_f16 v24, v24, v8, -v53
	v_fma_f16 v25, v25, v8, -v55
	;; [unrolled: 1-line block ×4, first 2 shown]
	v_sub_f16_e32 v27, v11, v36
	v_sub_f16_e32 v36, v28, v9
	;; [unrolled: 1-line block ×14, first 2 shown]
	v_fma_f16 v8, v11, 2.0, -v27
	v_fma_f16 v11, v28, 2.0, -v36
	;; [unrolled: 1-line block ×14, first 2 shown]
	ds_write_b16 v20, v27 offset:4
	ds_write_b16 v20, v8
	ds_write_b16 v16, v12
	ds_write_b16 v16, v9 offset:4
	ds_write_b16 v17, v13
	ds_write_b16 v17, v37 offset:4
	;; [unrolled: 2-line block ×6, first 2 shown]
	s_waitcnt lgkmcnt(0)
	s_barrier
	buffer_gl0_inv
	ds_read_u16 v9, v5
	ds_read_u16 v27, v6 offset:1568
	ds_read_u16 v30, v6 offset:1372
	;; [unrolled: 1-line block ×13, first 2 shown]
	s_waitcnt lgkmcnt(0)
	s_barrier
	buffer_gl0_inv
	ds_write_b16 v20, v11
	ds_write_b16 v20, v36 offset:4
	ds_write_b16 v16, v28
	ds_write_b16 v16, v22 offset:4
	;; [unrolled: 2-line block ×7, first 2 shown]
	v_and_b32_e32 v23, 3, v4
	s_waitcnt lgkmcnt(0)
	s_barrier
	buffer_gl0_inv
	global_load_dwordx4 v[11:14], v19, s[8:9] offset:8
	v_mul_u32_u24_e32 v15, 6, v23
	global_load_dwordx2 v[19:20], v19, s[8:9] offset:24
	v_lshrrev_b32_e32 v26, 2, v0
	v_lshrrev_b32_e32 v28, 2, v4
	v_lshrrev_b16 v24, 2, v0
	v_lshlrev_b32_e32 v21, 2, v15
	s_clause 0x1
	global_load_dwordx4 v[15:18], v21, s[8:9] offset:8
	global_load_dwordx2 v[21:22], v21, s[8:9] offset:24
	v_mul_u32_u24_e32 v26, 28, v26
	v_mul_u32_u24_e32 v28, 28, v28
	ds_read_u16 v32, v6 offset:392
	ds_read_u16 v34, v6 offset:1176
	v_lshrrev_b16 v25, 2, v4
	v_or_b32_e32 v10, v26, v10
	v_or_b32_e32 v23, v28, v23
	v_and_b32_e32 v24, 63, v24
	v_mov_b32_e32 v31, 6
	v_and_b32_e32 v25, 63, v25
	v_lshl_add_u32 v10, v10, 1, v7
	v_lshl_add_u32 v7, v23, 1, v7
	ds_read_u16 v23, v6 offset:784
	ds_read_u16 v35, v5
	ds_read_u16 v36, v6 offset:1568
	ds_read_u16 v45, v6 offset:1960
	ds_read_u16 v47, v6 offset:1372
	ds_read_u16 v48, v6 offset:980
	ds_read_u16 v49, v6 offset:588
	ds_read_u16 v50, v6 offset:196
	ds_read_u16 v51, v6 offset:2548
	ds_read_u16 v52, v6 offset:2352
	ds_read_u16 v53, v6 offset:2156
	ds_read_u16 v54, v6 offset:1764
	v_mul_lo_u16 v24, v24, 37
	v_mul_lo_u16 v25, v25, 37
	s_waitcnt vmcnt(0) lgkmcnt(0)
	s_barrier
	buffer_gl0_inv
	v_lshrrev_b16 v24, 8, v24
	v_lshrrev_b16 v25, 8, v25
	v_mul_lo_u16 v29, v24, 28
	v_mul_lo_u16 v28, v25, 28
	v_sub_nc_u16 v26, v0, v29
	v_sub_nc_u16 v28, v4, v28
	v_mul_u32_u24_sdwa v29, v26, v31 dst_sel:DWORD dst_unused:UNUSED_PAD src0_sel:BYTE_0 src1_sel:DWORD
	v_lshlrev_b32_e32 v29, 2, v29
	v_mul_f16_sdwa v55, v32, v11 dst_sel:DWORD dst_unused:UNUSED_PAD src0_sel:DWORD src1_sel:WORD_1
	v_mul_f16_sdwa v56, v40, v11 dst_sel:DWORD dst_unused:UNUSED_PAD src0_sel:DWORD src1_sel:WORD_1
	v_mul_f16_sdwa v57, v23, v12 dst_sel:DWORD dst_unused:UNUSED_PAD src0_sel:DWORD src1_sel:WORD_1
	v_mul_f16_sdwa v58, v38, v12 dst_sel:DWORD dst_unused:UNUSED_PAD src0_sel:DWORD src1_sel:WORD_1
	v_mul_f16_sdwa v59, v34, v13 dst_sel:DWORD dst_unused:UNUSED_PAD src0_sel:DWORD src1_sel:WORD_1
	v_mul_f16_sdwa v60, v33, v13 dst_sel:DWORD dst_unused:UNUSED_PAD src0_sel:DWORD src1_sel:WORD_1
	v_fmac_f16_e32 v55, v40, v11
	v_mul_f16_sdwa v40, v36, v14 dst_sel:DWORD dst_unused:UNUSED_PAD src0_sel:DWORD src1_sel:WORD_1
	v_fma_f16 v11, v32, v11, -v56
	v_mul_f16_sdwa v32, v27, v14 dst_sel:DWORD dst_unused:UNUSED_PAD src0_sel:DWORD src1_sel:WORD_1
	v_fmac_f16_e32 v57, v38, v12
	v_mul_f16_sdwa v38, v45, v19 dst_sel:DWORD dst_unused:UNUSED_PAD src0_sel:DWORD src1_sel:WORD_1
	v_fma_f16 v12, v23, v12, -v58
	v_mul_f16_sdwa v23, v44, v19 dst_sel:DWORD dst_unused:UNUSED_PAD src0_sel:DWORD src1_sel:WORD_1
	;; [unrolled: 4-line block ×4, first 2 shown]
	v_mul_f16_sdwa v36, v48, v16 dst_sel:DWORD dst_unused:UNUSED_PAD src0_sel:DWORD src1_sel:WORD_1
	v_fmac_f16_e32 v38, v44, v19
	v_fma_f16 v19, v45, v19, -v23
	v_fmac_f16_e32 v33, v42, v20
	v_mul_f16_sdwa v42, v53, v21 dst_sel:DWORD dst_unused:UNUSED_PAD src0_sel:DWORD src1_sel:WORD_1
	v_fma_f16 v20, v52, v20, -v34
	v_mul_f16_sdwa v45, v51, v22 dst_sel:DWORD dst_unused:UNUSED_PAD src0_sel:DWORD src1_sel:WORD_1
	v_mul_f16_sdwa v52, v41, v22 dst_sel:DWORD dst_unused:UNUSED_PAD src0_sel:DWORD src1_sel:WORD_1
	;; [unrolled: 1-line block ×8, first 2 shown]
	v_fmac_f16_e32 v27, v39, v15
	v_fma_f16 v15, v49, v15, -v32
	v_fmac_f16_e32 v36, v37, v16
	v_fmac_f16_e32 v42, v43, v21
	;; [unrolled: 1-line block ×3, first 2 shown]
	v_fma_f16 v22, v51, v22, -v52
	v_fma_f16 v16, v48, v16, -v56
	v_fmac_f16_e32 v58, v30, v17
	v_fma_f16 v17, v47, v17, -v60
	v_fmac_f16_e32 v44, v46, v18
	v_fma_f16 v18, v54, v18, -v23
	v_fma_f16 v21, v53, v21, -v34
	v_add_f16_e32 v23, v55, v33
	v_add_f16_e32 v30, v11, v20
	v_sub_f16_e32 v11, v11, v20
	v_add_f16_e32 v20, v57, v38
	v_sub_f16_e32 v32, v55, v33
	;; [unrolled: 2-line block ×4, first 2 shown]
	v_add_f16_e32 v14, v27, v45
	v_add_f16_e32 v39, v15, v22
	v_sub_f16_e32 v15, v15, v22
	v_add_f16_e32 v22, v36, v42
	v_sub_f16_e32 v34, v57, v38
	;; [unrolled: 2-line block ×3, first 2 shown]
	v_add_f16_e32 v40, v16, v21
	v_add_f16_e32 v41, v17, v18
	v_sub_f16_e32 v17, v18, v17
	v_add_f16_e32 v18, v20, v23
	v_sub_f16_e32 v27, v27, v45
	v_sub_f16_e32 v36, v36, v42
	;; [unrolled: 1-line block ×3, first 2 shown]
	v_add_f16_e32 v21, v58, v44
	v_sub_f16_e32 v42, v44, v58
	v_add_f16_e32 v43, v33, v30
	v_sub_f16_e32 v45, v33, v30
	v_sub_f16_e32 v30, v30, v37
	;; [unrolled: 1-line block ×3, first 2 shown]
	v_add_f16_e32 v47, v13, v12
	v_sub_f16_e32 v49, v13, v12
	v_sub_f16_e32 v12, v12, v11
	v_add_f16_e32 v51, v22, v14
	v_sub_f16_e32 v44, v20, v23
	v_sub_f16_e32 v23, v23, v19
	;; [unrolled: 1-line block ×3, first 2 shown]
	v_add_f16_e32 v46, v38, v34
	v_sub_f16_e32 v48, v38, v34
	v_add_f16_e32 v52, v40, v39
	v_add_f16_e32 v18, v19, v18
	v_sub_f16_e32 v13, v11, v13
	v_sub_f16_e32 v53, v22, v14
	v_sub_f16_e32 v14, v14, v21
	v_sub_f16_e32 v22, v21, v22
	v_add_f16_e32 v55, v42, v36
	v_add_f16_e32 v56, v17, v16
	v_sub_f16_e32 v57, v42, v36
	v_sub_f16_e32 v58, v17, v16
	;; [unrolled: 1-line block ×4, first 2 shown]
	v_add_f16_e32 v19, v37, v43
	v_add_f16_e32 v11, v47, v11
	v_mul_f16_e32 v30, 0x3a52, v30
	v_mul_f16_e32 v43, 0x2b26, v33
	;; [unrolled: 1-line block ×4, first 2 shown]
	v_add_f16_e32 v21, v21, v51
	v_sub_f16_e32 v38, v32, v38
	v_sub_f16_e32 v34, v34, v32
	;; [unrolled: 1-line block ×5, first 2 shown]
	v_add_f16_e32 v32, v46, v32
	v_mul_f16_e32 v23, 0x3a52, v23
	v_mul_f16_e32 v37, 0x2b26, v20
	;; [unrolled: 1-line block ×3, first 2 shown]
	v_add_f16_e32 v41, v41, v52
	v_add_f16_e32 v9, v9, v18
	v_sub_f16_e32 v42, v27, v42
	v_sub_f16_e32 v17, v15, v17
	v_add_f16_e32 v27, v55, v27
	v_add_f16_e32 v15, v56, v15
	v_mul_f16_e32 v14, 0x3a52, v14
	v_mul_f16_e32 v51, 0x2b26, v22
	;; [unrolled: 1-line block ×6, first 2 shown]
	v_add_f16_e32 v35, v35, v19
	v_fmamk_f16 v33, v33, 0x2b26, v30
	v_fma_f16 v43, v45, 0x39e0, -v43
	v_fma_f16 v30, v45, 0xb9e0, -v30
	v_fmamk_f16 v45, v13, 0xb574, v47
	v_fma_f16 v12, v12, 0xbb00, -v47
	v_fma_f16 v13, v13, 0x3574, -v49
	v_add_f16_e32 v8, v8, v21
	v_mul_f16_e32 v48, 0xbb00, v34
	v_mul_f16_e32 v39, 0x3a52, v39
	;; [unrolled: 1-line block ×3, first 2 shown]
	v_fmamk_f16 v20, v20, 0x2b26, v23
	v_fma_f16 v37, v44, 0x39e0, -v37
	v_fma_f16 v23, v44, 0xb9e0, -v23
	v_fmamk_f16 v44, v38, 0xb574, v46
	v_fma_f16 v34, v34, 0xbb00, -v46
	v_add_f16_e32 v46, v50, v41
	v_fmamk_f16 v18, v18, 0xbcab, v9
	v_fmamk_f16 v22, v22, 0x2b26, v14
	v_fma_f16 v47, v53, 0x39e0, -v51
	v_fma_f16 v14, v53, 0xb9e0, -v14
	v_fmamk_f16 v49, v42, 0xb574, v55
	v_fmamk_f16 v50, v17, 0xb574, v56
	v_fma_f16 v36, v36, 0xbb00, -v55
	v_fma_f16 v16, v16, 0xbb00, -v56
	;; [unrolled: 1-line block ×4, first 2 shown]
	v_fmamk_f16 v19, v19, 0xbcab, v35
	v_fmac_f16_e32 v45, 0xb70e, v11
	v_fmac_f16_e32 v12, 0xb70e, v11
	;; [unrolled: 1-line block ×3, first 2 shown]
	v_fmamk_f16 v11, v21, 0xbcab, v8
	v_fma_f16 v38, v38, 0x3574, -v48
	v_fmamk_f16 v40, v40, 0x2b26, v39
	v_fma_f16 v48, v54, 0x39e0, -v52
	v_fma_f16 v39, v54, 0xb9e0, -v39
	v_fmamk_f16 v21, v41, 0xbcab, v46
	ds_write_b16 v10, v9
	v_add_f16_e32 v9, v20, v18
	v_add_f16_e32 v20, v37, v18
	;; [unrolled: 1-line block ×3, first 2 shown]
	v_fmac_f16_e32 v34, 0xb70e, v32
	v_fmac_f16_e32 v49, 0xb70e, v27
	;; [unrolled: 1-line block ×7, first 2 shown]
	v_add_f16_e32 v15, v33, v19
	v_add_f16_e32 v27, v43, v19
	;; [unrolled: 1-line block ×6, first 2 shown]
	v_fmac_f16_e32 v44, 0xb70e, v32
	v_fmac_f16_e32 v38, 0xb70e, v32
	v_add_f16_e32 v23, v40, v21
	v_add_f16_e32 v32, v48, v21
	;; [unrolled: 1-line block ×5, first 2 shown]
	v_sub_f16_e32 v40, v20, v12
	v_add_f16_e32 v12, v12, v20
	v_add_f16_e32 v41, v34, v27
	v_sub_f16_e32 v20, v27, v34
	v_sub_f16_e32 v13, v18, v13
	v_add_f16_e32 v34, v17, v11
	v_sub_f16_e32 v11, v11, v17
	v_sub_f16_e32 v39, v19, v38
	v_add_f16_e32 v18, v38, v19
	v_sub_f16_e32 v9, v9, v45
	v_add_f16_e32 v19, v50, v22
	;; [unrolled: 2-line block ×3, first 2 shown]
	v_sub_f16_e32 v17, v22, v50
	ds_write_b16 v10, v21 offset:8
	ds_write_b16 v10, v37 offset:16
	;; [unrolled: 1-line block ×6, first 2 shown]
	ds_write_b16 v7, v8
	ds_write_b16 v7, v19 offset:8
	ds_write_b16 v7, v34 offset:16
	;; [unrolled: 1-line block ×6, first 2 shown]
	v_mul_u32_u24_sdwa v11, v28, v31 dst_sel:DWORD dst_unused:UNUSED_PAD src0_sel:BYTE_0 src1_sel:DWORD
	v_sub_f16_e32 v33, v15, v44
	v_add_f16_e32 v15, v44, v15
	v_sub_f16_e32 v27, v23, v49
	v_sub_f16_e32 v38, v14, v42
	v_lshlrev_b32_e32 v17, 2, v11
	v_add_f16_e32 v44, v36, v32
	v_sub_f16_e32 v30, v32, v36
	v_add_f16_e32 v14, v42, v14
	v_add_f16_e32 v22, v49, v23
	s_waitcnt lgkmcnt(0)
	s_barrier
	buffer_gl0_inv
	ds_read_u16 v19, v5
	ds_read_u16 v21, v6 offset:1568
	ds_read_u16 v23, v6 offset:1372
	;; [unrolled: 1-line block ×13, first 2 shown]
	s_waitcnt lgkmcnt(0)
	s_barrier
	buffer_gl0_inv
	ds_write_b16 v10, v35
	ds_write_b16 v10, v33 offset:8
	ds_write_b16 v10, v39 offset:16
	;; [unrolled: 1-line block ×6, first 2 shown]
	ds_write_b16 v7, v46
	ds_write_b16 v7, v27 offset:8
	ds_write_b16 v7, v38 offset:16
	ds_write_b16 v7, v44 offset:24
	ds_write_b16 v7, v30 offset:32
	ds_write_b16 v7, v14 offset:40
	ds_write_b16 v7, v22 offset:48
	s_waitcnt lgkmcnt(0)
	s_barrier
	buffer_gl0_inv
	s_clause 0x3
	global_load_dwordx4 v[7:10], v29, s[8:9] offset:104
	global_load_dwordx2 v[15:16], v29, s[8:9] offset:120
	global_load_dwordx4 v[11:14], v17, s[8:9] offset:104
	global_load_dwordx2 v[17:18], v17, s[8:9] offset:120
	v_and_b32_e32 v20, 0xffff, v24
	v_mov_b32_e32 v22, 1
	v_and_b32_e32 v24, 0xffff, v25
	v_mad_u32_u24 v20, 0x188, v20, 0
	v_lshlrev_b32_sdwa v25, v22, v26 dst_sel:DWORD dst_unused:UNUSED_PAD src0_sel:DWORD src1_sel:BYTE_0
	ds_read_u16 v26, v6 offset:392
	ds_read_u16 v27, v6 offset:784
	v_mad_u32_u24 v24, 0x188, v24, 0
	v_lshlrev_b32_sdwa v22, v22, v28 dst_sel:DWORD dst_unused:UNUSED_PAD src0_sel:DWORD src1_sel:BYTE_0
	v_add3_u32 v25, v20, v25, v1
	ds_read_u16 v20, v6 offset:1176
	v_add3_u32 v1, v24, v22, v1
	ds_read_u16 v22, v6 offset:1568
	ds_read_u16 v24, v5
	ds_read_u16 v28, v6 offset:1960
	ds_read_u16 v29, v6 offset:2352
	;; [unrolled: 1-line block ×9, first 2 shown]
	s_waitcnt vmcnt(0) lgkmcnt(0)
	s_barrier
	buffer_gl0_inv
	v_mul_f16_sdwa v56, v28, v15 dst_sel:DWORD dst_unused:UNUSED_PAD src0_sel:DWORD src1_sel:WORD_1
	v_mul_f16_sdwa v44, v26, v7 dst_sel:DWORD dst_unused:UNUSED_PAD src0_sel:DWORD src1_sel:WORD_1
	;; [unrolled: 1-line block ×13, first 2 shown]
	v_fmac_f16_e32 v44, v40, v7
	v_mul_f16_sdwa v40, v37, v11 dst_sel:DWORD dst_unused:UNUSED_PAD src0_sel:DWORD src1_sel:WORD_1
	v_fma_f16 v7, v26, v7, -v46
	v_mul_f16_sdwa v26, v31, v12 dst_sel:DWORD dst_unused:UNUSED_PAD src0_sel:DWORD src1_sel:WORD_1
	v_fmac_f16_e32 v50, v36, v8
	v_mul_f16_sdwa v36, v34, v12 dst_sel:DWORD dst_unused:UNUSED_PAD src0_sel:DWORD src1_sel:WORD_1
	v_fma_f16 v8, v27, v8, -v51
	v_fmac_f16_e32 v52, v32, v9
	v_fma_f16 v9, v20, v9, -v53
	v_fmac_f16_e32 v54, v21, v10
	v_fma_f16 v10, v22, v10, -v55
	v_mul_f16_sdwa v22, v39, v17 dst_sel:DWORD dst_unused:UNUSED_PAD src0_sel:DWORD src1_sel:WORD_1
	v_mul_f16_sdwa v46, v47, v17 dst_sel:DWORD dst_unused:UNUSED_PAD src0_sel:DWORD src1_sel:WORD_1
	v_mul_f16_sdwa v51, v38, v18 dst_sel:DWORD dst_unused:UNUSED_PAD src0_sel:DWORD src1_sel:WORD_1
	v_mul_f16_sdwa v53, v43, v18 dst_sel:DWORD dst_unused:UNUSED_PAD src0_sel:DWORD src1_sel:WORD_1
	v_mul_f16_sdwa v27, v30, v13 dst_sel:DWORD dst_unused:UNUSED_PAD src0_sel:DWORD src1_sel:WORD_1
	v_mul_f16_sdwa v32, v23, v13 dst_sel:DWORD dst_unused:UNUSED_PAD src0_sel:DWORD src1_sel:WORD_1
	v_mul_f16_sdwa v20, v41, v14 dst_sel:DWORD dst_unused:UNUSED_PAD src0_sel:DWORD src1_sel:WORD_1
	v_mul_f16_sdwa v21, v49, v14 dst_sel:DWORD dst_unused:UNUSED_PAD src0_sel:DWORD src1_sel:WORD_1
	v_fmac_f16_e32 v56, v48, v15
	v_fmac_f16_e32 v58, v45, v16
	v_fma_f16 v16, v29, v16, -v59
	v_fma_f16 v15, v28, v15, -v57
	v_fmac_f16_e32 v60, v37, v11
	v_fma_f16 v11, v33, v11, -v40
	v_fmac_f16_e32 v26, v34, v12
	;; [unrolled: 2-line block ×6, first 2 shown]
	v_fma_f16 v14, v41, v14, -v21
	v_add_f16_e32 v21, v44, v58
	v_add_f16_e32 v23, v7, v16
	v_sub_f16_e32 v7, v7, v16
	v_add_f16_e32 v16, v50, v56
	v_add_f16_e32 v29, v8, v15
	v_sub_f16_e32 v30, v50, v56
	v_sub_f16_e32 v8, v8, v15
	v_add_f16_e32 v15, v52, v54
	v_add_f16_e32 v31, v9, v10
	v_sub_f16_e32 v32, v54, v52
	v_sub_f16_e32 v9, v10, v9
	v_add_f16_e32 v10, v60, v51
	v_add_f16_e32 v33, v11, v18
	v_sub_f16_e32 v11, v11, v18
	v_add_f16_e32 v18, v26, v22
	v_add_f16_e32 v36, v12, v17
	v_sub_f16_e32 v22, v26, v22
	v_sub_f16_e32 v12, v12, v17
	v_add_f16_e32 v26, v13, v14
	v_sub_f16_e32 v13, v14, v13
	v_add_f16_e32 v14, v16, v21
	v_sub_f16_e32 v28, v44, v58
	v_sub_f16_e32 v34, v60, v51
	v_add_f16_e32 v17, v27, v20
	v_sub_f16_e32 v20, v20, v27
	v_add_f16_e32 v27, v29, v23
	v_sub_f16_e32 v37, v16, v21
	v_sub_f16_e32 v38, v29, v23
	;; [unrolled: 1-line block ×6, first 2 shown]
	v_add_f16_e32 v39, v32, v30
	v_add_f16_e32 v40, v9, v8
	v_sub_f16_e32 v41, v32, v30
	v_sub_f16_e32 v43, v9, v8
	;; [unrolled: 1-line block ×3, first 2 shown]
	v_add_f16_e32 v44, v18, v10
	v_add_f16_e32 v45, v36, v33
	;; [unrolled: 1-line block ×3, first 2 shown]
	v_sub_f16_e32 v51, v13, v12
	v_sub_f16_e32 v12, v12, v11
	v_add_f16_e32 v14, v15, v14
	v_sub_f16_e32 v32, v28, v32
	v_sub_f16_e32 v9, v7, v9
	;; [unrolled: 1-line block ×9, first 2 shown]
	v_add_f16_e32 v48, v20, v22
	v_sub_f16_e32 v50, v20, v22
	v_sub_f16_e32 v22, v22, v34
	v_add_f16_e32 v15, v31, v27
	v_add_f16_e32 v27, v39, v28
	;; [unrolled: 1-line block ×3, first 2 shown]
	v_mul_f16_e32 v21, 0x3a52, v21
	v_mul_f16_e32 v23, 0x3a52, v23
	;; [unrolled: 1-line block ×7, first 2 shown]
	v_add_f16_e32 v17, v17, v44
	v_add_f16_e32 v26, v26, v45
	v_sub_f16_e32 v13, v11, v13
	v_add_f16_e32 v11, v49, v11
	v_mul_f16_e32 v49, 0x3846, v51
	v_mul_f16_e32 v51, 0xbb00, v12
	v_add_f16_e32 v19, v19, v14
	v_sub_f16_e32 v20, v34, v20
	v_mul_f16_e32 v41, 0xbb00, v30
	v_add_f16_e32 v34, v48, v34
	v_mul_f16_e32 v10, 0x3a52, v10
	v_mul_f16_e32 v33, 0x3a52, v33
	;; [unrolled: 1-line block ×5, first 2 shown]
	v_add_f16_e32 v24, v24, v15
	v_fmamk_f16 v16, v16, 0x2b26, v21
	v_fmamk_f16 v29, v29, 0x2b26, v23
	v_fma_f16 v28, v37, 0x39e0, -v28
	v_fma_f16 v31, v38, 0x39e0, -v31
	v_fma_f16 v21, v37, 0xb9e0, -v21
	v_fma_f16 v23, v38, 0xb9e0, -v23
	v_fmamk_f16 v37, v32, 0xb574, v39
	v_fmamk_f16 v38, v9, 0xb574, v40
	v_fma_f16 v30, v30, 0xbb00, -v39
	v_fma_f16 v8, v8, 0xbb00, -v40
	;; [unrolled: 1-line block ×3, first 2 shown]
	v_add_f16_e32 v39, v42, v17
	v_add_f16_e32 v35, v35, v26
	v_mul_f16_e32 v45, 0x2b26, v36
	v_fmamk_f16 v43, v13, 0xb574, v49
	v_fma_f16 v12, v12, 0xbb00, -v49
	v_fma_f16 v13, v13, 0x3574, -v51
	v_fmamk_f16 v14, v14, 0xbcab, v19
	v_fma_f16 v32, v32, 0x3574, -v41
	v_fmamk_f16 v18, v18, 0x2b26, v10
	v_fmamk_f16 v36, v36, 0x2b26, v33
	v_fma_f16 v40, v46, 0x39e0, -v44
	v_fma_f16 v10, v46, 0xb9e0, -v10
	;; [unrolled: 1-line block ×3, first 2 shown]
	v_fmamk_f16 v42, v20, 0xb574, v48
	v_fma_f16 v20, v20, 0x3574, -v50
	v_fmamk_f16 v15, v15, 0xbcab, v24
	v_fmac_f16_e32 v38, 0xb70e, v7
	v_fmac_f16_e32 v8, 0xb70e, v7
	;; [unrolled: 1-line block ×3, first 2 shown]
	v_fmamk_f16 v7, v17, 0xbcab, v39
	v_fmamk_f16 v17, v26, 0xbcab, v35
	v_fma_f16 v41, v47, 0x39e0, -v45
	v_fmac_f16_e32 v43, 0xb70e, v11
	v_fmac_f16_e32 v12, 0xb70e, v11
	;; [unrolled: 1-line block ×3, first 2 shown]
	v_add_f16_e32 v11, v16, v14
	ds_write_b16 v25, v19
	v_add_f16_e32 v19, v28, v14
	v_add_f16_e32 v14, v21, v14
	v_fma_f16 v22, v22, 0xbb00, -v48
	v_fmac_f16_e32 v37, 0xb70e, v27
	v_fmac_f16_e32 v30, 0xb70e, v27
	;; [unrolled: 1-line block ×4, first 2 shown]
	v_add_f16_e32 v16, v29, v15
	v_add_f16_e32 v26, v31, v15
	;; [unrolled: 1-line block ×11, first 2 shown]
	v_sub_f16_e32 v33, v19, v8
	v_add_f16_e32 v8, v8, v19
	v_fmac_f16_e32 v42, 0xb70e, v34
	v_fmac_f16_e32 v22, 0xb70e, v34
	v_sub_f16_e32 v28, v16, v37
	v_sub_f16_e32 v31, v15, v32
	v_add_f16_e32 v34, v30, v26
	v_sub_f16_e32 v26, v26, v30
	v_sub_f16_e32 v9, v14, v9
	v_add_f16_e32 v30, v32, v15
	v_sub_f16_e32 v11, v11, v38
	v_add_f16_e32 v32, v37, v16
	v_add_f16_e32 v14, v43, v18
	;; [unrolled: 1-line block ×3, first 2 shown]
	v_sub_f16_e32 v37, v10, v20
	v_sub_f16_e32 v16, v23, v12
	v_add_f16_e32 v12, v12, v23
	v_sub_f16_e32 v7, v7, v13
	v_add_f16_e32 v23, v20, v10
	v_sub_f16_e32 v10, v18, v43
	ds_write_b16 v25, v17 offset:56
	ds_write_b16 v25, v29 offset:112
	;; [unrolled: 1-line block ×6, first 2 shown]
	ds_write_b16 v1, v39
	ds_write_b16 v1, v14 offset:56
	ds_write_b16 v1, v15 offset:112
	;; [unrolled: 1-line block ×6, first 2 shown]
	s_waitcnt lgkmcnt(0)
	s_barrier
	buffer_gl0_inv
	ds_read_u16 v7, v5
	ds_read_u16 v10, v6 offset:1568
	ds_read_u16 v15, v6 offset:1372
	;; [unrolled: 1-line block ×13, first 2 shown]
	v_sub_f16_e32 v36, v21, v42
	v_add_f16_e32 v38, v22, v27
	v_sub_f16_e32 v22, v27, v22
	v_add_f16_e32 v21, v42, v21
	s_waitcnt lgkmcnt(0)
	s_barrier
	buffer_gl0_inv
	ds_write_b16 v25, v24
	ds_write_b16 v25, v28 offset:56
	ds_write_b16 v25, v31 offset:112
	;; [unrolled: 1-line block ×6, first 2 shown]
	ds_write_b16 v1, v35
	ds_write_b16 v1, v36 offset:56
	ds_write_b16 v1, v37 offset:112
	;; [unrolled: 1-line block ×6, first 2 shown]
	s_waitcnt lgkmcnt(0)
	s_barrier
	buffer_gl0_inv
	s_and_saveexec_b32 s0, vcc_lo
	s_cbranch_execz .LBB0_13
; %bb.12:
	v_mul_u32_u24_e32 v1, 6, v4
	v_mul_u32_u24_e32 v25, 6, v0
	v_mul_hi_u32 v33, 0x5397829d, v4
	v_lshlrev_b32_e32 v1, 2, v1
	v_lshrrev_b32_e32 v33, 6, v33
	s_clause 0x1
	global_load_dwordx4 v[21:24], v1, s[8:9] offset:776
	global_load_dwordx2 v[29:30], v1, s[8:9] offset:792
	v_lshlrev_b32_e32 v1, 2, v25
	s_clause 0x1
	global_load_dwordx4 v[25:28], v1, s[8:9] offset:776
	global_load_dwordx2 v[31:32], v1, s[8:9] offset:792
	ds_read_u16 v35, v6 offset:1372
	ds_read_u16 v36, v6 offset:1176
	;; [unrolled: 1-line block ×13, first 2 shown]
	ds_read_u16 v47, v5
	v_mov_b32_e32 v1, 0
	v_lshlrev_b64 v[4:5], 2, v[0:1]
	v_add_co_u32 v0, vcc_lo, s2, v2
	v_add_co_ci_u32_e32 v3, vcc_lo, s3, v3, vcc_lo
	v_add_co_u32 v2, vcc_lo, v0, v4
	v_mul_u32_u24_e32 v0, 0x498, v33
	v_add_co_ci_u32_e32 v3, vcc_lo, v3, v5, vcc_lo
	v_add_co_u32 v4, vcc_lo, 0x800, v2
	v_lshlrev_b64 v[0:1], 2, v[0:1]
	v_add_co_ci_u32_e32 v5, vcc_lo, 0, v3, vcc_lo
	v_add_co_u32 v33, vcc_lo, 0x1000, v2
	v_add_co_ci_u32_e32 v34, vcc_lo, 0, v3, vcc_lo
	v_add_co_u32 v0, vcc_lo, v2, v0
	v_add_co_ci_u32_e32 v1, vcc_lo, v3, v1, vcc_lo
	s_waitcnt vmcnt(3)
	v_lshrrev_b32_e32 v48, 16, v21
	v_lshrrev_b32_e32 v50, 16, v23
	v_mul_f16_e32 v52, v17, v21
	s_waitcnt vmcnt(2)
	v_lshrrev_b32_e32 v53, 16, v29
	v_lshrrev_b32_e32 v54, 16, v30
	v_mul_f16_e32 v57, v15, v23
	v_mul_f16_e32 v55, v20, v30
	;; [unrolled: 1-line block ×5, first 2 shown]
	s_waitcnt lgkmcnt(9)
	v_fmac_f16_e32 v52, v39, v48
	v_mul_f16_e32 v17, v17, v48
	s_waitcnt vmcnt(0)
	v_lshrrev_b32_e32 v48, 16, v32
	v_fmac_f16_e32 v57, v35, v50
	v_mul_f16_e32 v15, v15, v50
	v_mul_f16_e32 v50, v16, v32
	v_lshrrev_b32_e32 v49, 16, v22
	v_lshrrev_b32_e32 v51, 16, v24
	v_mul_f16_e32 v56, v18, v24
	v_mul_f16_e32 v58, v14, v22
	s_waitcnt lgkmcnt(7)
	v_fmac_f16_e32 v55, v41, v54
	v_lshrrev_b32_e32 v54, 16, v25
	v_fma_f16 v20, v41, v30, -v20
	v_lshrrev_b32_e32 v30, 16, v26
	s_waitcnt lgkmcnt(5)
	v_fma_f16 v19, v43, v29, -v19
	v_fmac_f16_e32 v59, v43, v53
	v_mul_f16_e32 v43, v13, v25
	v_lshrrev_b32_e32 v53, 16, v31
	v_fmac_f16_e32 v50, v42, v48
	v_mul_f16_e32 v16, v16, v48
	v_mul_f16_e32 v48, v9, v26
	v_lshrrev_b32_e32 v29, 16, v27
	v_lshrrev_b32_e32 v41, 16, v28
	s_waitcnt lgkmcnt(3)
	v_fmac_f16_e32 v56, v45, v51
	v_mul_f16_e32 v18, v18, v51
	v_mul_f16_e32 v51, v10, v28
	v_fmac_f16_e32 v58, v37, v49
	v_mul_f16_e32 v14, v14, v49
	v_mul_f16_e32 v49, v12, v27
	;; [unrolled: 3-line block ×4, first 2 shown]
	s_waitcnt lgkmcnt(2)
	v_fmac_f16_e32 v51, v46, v41
	v_fmac_f16_e32 v49, v36, v29
	v_mul_f16_e32 v29, v12, v29
	v_mul_f16_e32 v41, v10, v41
	v_fmac_f16_e32 v60, v44, v53
	v_fma_f16 v17, v39, v21, -v17
	v_sub_f16_e32 v21, v52, v55
	v_fma_f16 v15, v35, v23, -v15
	v_sub_f16_e32 v23, v56, v57
	;; [unrolled: 2-line block ×3, first 2 shown]
	v_fma_f16 v14, v37, v22, -v14
	v_add_f16_e32 v22, v52, v55
	v_add_f16_e32 v35, v56, v57
	;; [unrolled: 1-line block ×3, first 2 shown]
	v_fma_f16 v16, v42, v32, -v16
	v_fma_f16 v25, v40, v25, -v54
	v_fma_f16 v11, v44, v31, -v11
	v_fma_f16 v26, v38, v26, -v30
	v_sub_f16_e32 v39, v43, v50
	v_sub_f16_e32 v45, v51, v49
	;; [unrolled: 1-line block ×3, first 2 shown]
	v_fma_f16 v27, v36, v27, -v29
	v_fma_f16 v28, v46, v28, -v41
	v_add_f16_e32 v29, v43, v50
	v_add_f16_e32 v30, v51, v49
	;; [unrolled: 1-line block ×3, first 2 shown]
	v_sub_f16_e32 v32, v21, v23
	v_sub_f16_e32 v36, v23, v24
	v_add_f16_e32 v23, v23, v24
	v_add_f16_e32 v38, v17, v20
	;; [unrolled: 1-line block ×4, first 2 shown]
	v_sub_f16_e32 v42, v22, v35
	v_sub_f16_e32 v43, v35, v37
	v_add_f16_e32 v44, v22, v37
	v_sub_f16_e32 v17, v17, v20
	v_sub_f16_e32 v15, v18, v15
	;; [unrolled: 1-line block ×5, first 2 shown]
	v_add_f16_e32 v37, v25, v16
	v_add_f16_e32 v46, v26, v11
	v_sub_f16_e32 v20, v39, v45
	v_sub_f16_e32 v22, v45, v52
	v_add_f16_e32 v24, v45, v52
	v_add_f16_e32 v45, v28, v27
	v_sub_f16_e32 v48, v29, v30
	v_sub_f16_e32 v49, v30, v31
	v_add_f16_e32 v50, v29, v31
	v_sub_f16_e32 v16, v25, v16
	v_sub_f16_e32 v25, v28, v27
	;; [unrolled: 1-line block ×5, first 2 shown]
	v_mul_f16_e32 v28, 0x3846, v36
	v_add_f16_e32 v21, v21, v23
	v_sub_f16_e32 v23, v38, v40
	v_sub_f16_e32 v29, v40, v41
	v_add_f16_e32 v31, v38, v41
	v_mul_f16_e32 v36, 0x3a52, v42
	v_mul_f16_e32 v43, 0x2b26, v43
	v_add_f16_e32 v35, v35, v44
	v_sub_f16_e32 v44, v17, v15
	v_sub_f16_e32 v51, v15, v14
	v_add_f16_e32 v15, v15, v14
	v_mul_f16_e32 v52, 0xbb00, v18
	v_sub_f16_e32 v14, v14, v17
	v_add_f16_e32 v53, v37, v46
	v_sub_f16_e32 v38, v41, v38
	v_mul_f16_e32 v22, 0x3846, v22
	v_add_f16_e32 v24, v39, v24
	v_sub_f16_e32 v39, v37, v45
	v_sub_f16_e32 v41, v45, v46
	v_mul_f16_e32 v54, 0x3a52, v48
	v_mul_f16_e32 v49, 0x2b26, v49
	v_add_f16_e32 v30, v30, v50
	v_sub_f16_e32 v50, v16, v25
	v_sub_f16_e32 v55, v25, v11
	v_add_f16_e32 v25, v25, v11
	v_mul_f16_e32 v56, 0xbb00, v26
	v_sub_f16_e32 v37, v46, v37
	v_sub_f16_e32 v11, v11, v16
	v_fmamk_f16 v46, v32, 0xb574, v28
	v_mul_f16_e32 v57, 0x3a52, v23
	v_mul_f16_e32 v29, 0x2b26, v29
	v_add_f16_e32 v31, v40, v31
	v_fmamk_f16 v40, v42, 0x3a52, v43
	v_add_f16_e32 v8, v8, v35
	v_mul_f16_e32 v42, 0x3846, v51
	v_add_f16_e32 v15, v17, v15
	v_fma_f16 v17, v32, 0x3574, -v52
	v_fma_f16 v32, v19, 0xb9e0, -v36
	v_mul_f16_e32 v36, 0xbb00, v14
	v_add_f16_e32 v45, v45, v53
	v_fma_f16 v18, v18, 0xbb00, -v28
	v_fma_f16 v19, v19, 0x39e0, -v43
	v_fmamk_f16 v28, v20, 0xb574, v22
	v_mul_f16_e32 v43, 0x3a52, v39
	v_mul_f16_e32 v41, 0x2b26, v41
	v_fmamk_f16 v48, v48, 0x3a52, v49
	v_add_f16_e32 v7, v7, v30
	v_mul_f16_e32 v51, 0x3846, v55
	v_add_f16_e32 v16, v16, v25
	v_fma_f16 v20, v20, 0x3574, -v56
	v_fma_f16 v25, v27, 0xb9e0, -v54
	v_mul_f16_e32 v52, 0xbb00, v11
	v_fma_f16 v22, v26, 0xbb00, -v22
	v_fma_f16 v26, v27, 0x39e0, -v49
	v_fmamk_f16 v23, v23, 0x3a52, v29
	s_waitcnt lgkmcnt(1)
	v_add_f16_e32 v6, v6, v31
	v_fmamk_f16 v27, v35, 0xbcab, v8
	v_fmamk_f16 v35, v44, 0xb574, v42
	v_fma_f16 v49, v38, 0xb9e0, -v57
	v_fma_f16 v36, v44, 0x3574, -v36
	;; [unrolled: 1-line block ×4, first 2 shown]
	s_waitcnt lgkmcnt(0)
	v_add_f16_e32 v38, v47, v45
	v_fmac_f16_e32 v46, 0xb70e, v21
	v_fmac_f16_e32 v17, 0xb70e, v21
	;; [unrolled: 1-line block ×4, first 2 shown]
	v_fmamk_f16 v21, v39, 0x3a52, v41
	v_fmamk_f16 v30, v30, 0xbcab, v7
	;; [unrolled: 1-line block ×3, first 2 shown]
	v_fmac_f16_e32 v20, 0xb70e, v24
	v_fma_f16 v42, v37, 0xb9e0, -v43
	v_fma_f16 v43, v50, 0x3574, -v52
	v_fmac_f16_e32 v22, 0xb70e, v24
	v_fma_f16 v11, v11, 0xbb00, -v51
	v_fmamk_f16 v24, v31, 0xbcab, v6
	v_fmac_f16_e32 v35, 0xb70e, v15
	v_fmac_f16_e32 v36, 0xb70e, v15
	;; [unrolled: 1-line block ×3, first 2 shown]
	v_add_f16_e32 v15, v19, v27
	v_fmamk_f16 v19, v45, 0xbcab, v38
	v_add_f16_e32 v31, v40, v27
	v_fma_f16 v37, v37, 0x39e0, -v41
	v_add_f16_e32 v32, v32, v27
	v_add_f16_e32 v27, v48, v30
	v_fmac_f16_e32 v39, 0xb70e, v16
	v_add_f16_e32 v25, v25, v30
	v_fmac_f16_e32 v43, 0xb70e, v16
	v_fmac_f16_e32 v11, 0xb70e, v16
	v_add_f16_e32 v16, v26, v30
	v_pack_b32_f16 v6, v8, v6
	v_add_f16_e32 v8, v23, v24
	v_add_f16_e32 v26, v49, v24
	;; [unrolled: 1-line block ×4, first 2 shown]
	v_sub_f16_e32 v23, v31, v35
	v_add_f16_e32 v31, v35, v31
	v_add_f16_e32 v35, v42, v19
	;; [unrolled: 1-line block ×3, first 2 shown]
	v_pack_b32_f16 v7, v7, v38
	v_sub_f16_e32 v30, v32, v36
	v_add_f16_e32 v29, v14, v15
	v_sub_f16_e32 v14, v15, v14
	v_add_f16_e32 v15, v36, v32
	;; [unrolled: 2-line block ×4, first 2 shown]
	v_add_f16_e32 v25, v39, v27
	v_sub_f16_e32 v38, v24, v18
	v_add_f16_e32 v18, v18, v24
	v_add_f16_e32 v24, v28, v21
	v_sub_f16_e32 v21, v21, v28
	v_sub_f16_e32 v32, v27, v39
	v_add_f16_e32 v27, v17, v26
	v_sub_f16_e32 v17, v26, v17
	v_sub_f16_e32 v26, v35, v20
	v_add_f16_e32 v28, v22, v19
	v_sub_f16_e32 v19, v19, v22
	v_add_f16_e32 v20, v20, v35
	v_add_co_u32 v12, vcc_lo, 0x800, v0
	global_store_dword v[2:3], v7, off
	v_add_f16_e32 v7, v46, v8
	v_sub_f16_e32 v8, v8, v46
	v_pack_b32_f16 v21, v25, v21
	v_pack_b32_f16 v16, v16, v26
	v_add_co_ci_u32_e32 v13, vcc_lo, 0, v1, vcc_lo
	v_pack_b32_f16 v11, v11, v28
	v_add_co_u32 v9, vcc_lo, 0x1000, v0
	v_pack_b32_f16 v19, v37, v19
	v_pack_b32_f16 v20, v36, v20
	v_add_co_ci_u32_e32 v10, vcc_lo, 0, v1, vcc_lo
	v_pack_b32_f16 v22, v32, v24
	v_pack_b32_f16 v8, v31, v8
	;; [unrolled: 1-line block ×7, first 2 shown]
	global_store_dword v[2:3], v21, off offset:784
	global_store_dword v[2:3], v16, off offset:1568
	;; [unrolled: 1-line block ×13, first 2 shown]
.LBB0_13:
	s_endpgm
	.section	.rodata,"a",@progbits
	.p2align	6, 0x0
	.amdhsa_kernel fft_rtc_back_len1372_factors_2_2_7_7_7_wgs_196_tpt_98_halfLds_half_ip_CI_unitstride_sbrr_dirReg
		.amdhsa_group_segment_fixed_size 0
		.amdhsa_private_segment_fixed_size 0
		.amdhsa_kernarg_size 88
		.amdhsa_user_sgpr_count 6
		.amdhsa_user_sgpr_private_segment_buffer 1
		.amdhsa_user_sgpr_dispatch_ptr 0
		.amdhsa_user_sgpr_queue_ptr 0
		.amdhsa_user_sgpr_kernarg_segment_ptr 1
		.amdhsa_user_sgpr_dispatch_id 0
		.amdhsa_user_sgpr_flat_scratch_init 0
		.amdhsa_user_sgpr_private_segment_size 0
		.amdhsa_wavefront_size32 1
		.amdhsa_uses_dynamic_stack 0
		.amdhsa_system_sgpr_private_segment_wavefront_offset 0
		.amdhsa_system_sgpr_workgroup_id_x 1
		.amdhsa_system_sgpr_workgroup_id_y 0
		.amdhsa_system_sgpr_workgroup_id_z 0
		.amdhsa_system_sgpr_workgroup_info 0
		.amdhsa_system_vgpr_workitem_id 0
		.amdhsa_next_free_vgpr 61
		.amdhsa_next_free_sgpr 21
		.amdhsa_reserve_vcc 1
		.amdhsa_reserve_flat_scratch 0
		.amdhsa_float_round_mode_32 0
		.amdhsa_float_round_mode_16_64 0
		.amdhsa_float_denorm_mode_32 3
		.amdhsa_float_denorm_mode_16_64 3
		.amdhsa_dx10_clamp 1
		.amdhsa_ieee_mode 1
		.amdhsa_fp16_overflow 0
		.amdhsa_workgroup_processor_mode 1
		.amdhsa_memory_ordered 1
		.amdhsa_forward_progress 0
		.amdhsa_shared_vgpr_count 0
		.amdhsa_exception_fp_ieee_invalid_op 0
		.amdhsa_exception_fp_denorm_src 0
		.amdhsa_exception_fp_ieee_div_zero 0
		.amdhsa_exception_fp_ieee_overflow 0
		.amdhsa_exception_fp_ieee_underflow 0
		.amdhsa_exception_fp_ieee_inexact 0
		.amdhsa_exception_int_div_zero 0
	.end_amdhsa_kernel
	.text
.Lfunc_end0:
	.size	fft_rtc_back_len1372_factors_2_2_7_7_7_wgs_196_tpt_98_halfLds_half_ip_CI_unitstride_sbrr_dirReg, .Lfunc_end0-fft_rtc_back_len1372_factors_2_2_7_7_7_wgs_196_tpt_98_halfLds_half_ip_CI_unitstride_sbrr_dirReg
                                        ; -- End function
	.section	.AMDGPU.csdata,"",@progbits
; Kernel info:
; codeLenInByte = 8924
; NumSgprs: 23
; NumVgprs: 61
; ScratchSize: 0
; MemoryBound: 0
; FloatMode: 240
; IeeeMode: 1
; LDSByteSize: 0 bytes/workgroup (compile time only)
; SGPRBlocks: 2
; VGPRBlocks: 7
; NumSGPRsForWavesPerEU: 23
; NumVGPRsForWavesPerEU: 61
; Occupancy: 16
; WaveLimiterHint : 1
; COMPUTE_PGM_RSRC2:SCRATCH_EN: 0
; COMPUTE_PGM_RSRC2:USER_SGPR: 6
; COMPUTE_PGM_RSRC2:TRAP_HANDLER: 0
; COMPUTE_PGM_RSRC2:TGID_X_EN: 1
; COMPUTE_PGM_RSRC2:TGID_Y_EN: 0
; COMPUTE_PGM_RSRC2:TGID_Z_EN: 0
; COMPUTE_PGM_RSRC2:TIDIG_COMP_CNT: 0
	.text
	.p2alignl 6, 3214868480
	.fill 48, 4, 3214868480
	.type	__hip_cuid_dcb4da70835874f1,@object ; @__hip_cuid_dcb4da70835874f1
	.section	.bss,"aw",@nobits
	.globl	__hip_cuid_dcb4da70835874f1
__hip_cuid_dcb4da70835874f1:
	.byte	0                               ; 0x0
	.size	__hip_cuid_dcb4da70835874f1, 1

	.ident	"AMD clang version 19.0.0git (https://github.com/RadeonOpenCompute/llvm-project roc-6.4.0 25133 c7fe45cf4b819c5991fe208aaa96edf142730f1d)"
	.section	".note.GNU-stack","",@progbits
	.addrsig
	.addrsig_sym __hip_cuid_dcb4da70835874f1
	.amdgpu_metadata
---
amdhsa.kernels:
  - .args:
      - .actual_access:  read_only
        .address_space:  global
        .offset:         0
        .size:           8
        .value_kind:     global_buffer
      - .offset:         8
        .size:           8
        .value_kind:     by_value
      - .actual_access:  read_only
        .address_space:  global
        .offset:         16
        .size:           8
        .value_kind:     global_buffer
      - .actual_access:  read_only
        .address_space:  global
        .offset:         24
        .size:           8
        .value_kind:     global_buffer
      - .offset:         32
        .size:           8
        .value_kind:     by_value
      - .actual_access:  read_only
        .address_space:  global
        .offset:         40
        .size:           8
        .value_kind:     global_buffer
      - .actual_access:  read_only
        .address_space:  global
        .offset:         48
        .size:           8
        .value_kind:     global_buffer
      - .offset:         56
        .size:           4
        .value_kind:     by_value
      - .actual_access:  read_only
        .address_space:  global
        .offset:         64
        .size:           8
        .value_kind:     global_buffer
      - .actual_access:  read_only
        .address_space:  global
        .offset:         72
        .size:           8
        .value_kind:     global_buffer
      - .address_space:  global
        .offset:         80
        .size:           8
        .value_kind:     global_buffer
    .group_segment_fixed_size: 0
    .kernarg_segment_align: 8
    .kernarg_segment_size: 88
    .language:       OpenCL C
    .language_version:
      - 2
      - 0
    .max_flat_workgroup_size: 196
    .name:           fft_rtc_back_len1372_factors_2_2_7_7_7_wgs_196_tpt_98_halfLds_half_ip_CI_unitstride_sbrr_dirReg
    .private_segment_fixed_size: 0
    .sgpr_count:     23
    .sgpr_spill_count: 0
    .symbol:         fft_rtc_back_len1372_factors_2_2_7_7_7_wgs_196_tpt_98_halfLds_half_ip_CI_unitstride_sbrr_dirReg.kd
    .uniform_work_group_size: 1
    .uses_dynamic_stack: false
    .vgpr_count:     61
    .vgpr_spill_count: 0
    .wavefront_size: 32
    .workgroup_processor_mode: 1
amdhsa.target:   amdgcn-amd-amdhsa--gfx1030
amdhsa.version:
  - 1
  - 2
...

	.end_amdgpu_metadata
